;; amdgpu-corpus repo=ROCm/rocFFT kind=compiled arch=gfx950 opt=O3
	.text
	.amdgcn_target "amdgcn-amd-amdhsa--gfx950"
	.amdhsa_code_object_version 6
	.protected	bluestein_single_back_len343_dim1_dp_op_CI_CI ; -- Begin function bluestein_single_back_len343_dim1_dp_op_CI_CI
	.globl	bluestein_single_back_len343_dim1_dp_op_CI_CI
	.p2align	8
	.type	bluestein_single_back_len343_dim1_dp_op_CI_CI,@function
bluestein_single_back_len343_dim1_dp_op_CI_CI: ; @bluestein_single_back_len343_dim1_dp_op_CI_CI
; %bb.0:
	s_load_dwordx4 s[4:7], s[0:1], 0x28
	v_mul_u32_u24_e32 v1, 0x53a, v0
	v_lshrrev_b32_e32 v2, 16, v1
	v_mad_u64_u32 v[28:29], s[2:3], s2, 5, v[2:3]
	v_mov_b32_e32 v29, 0
	s_waitcnt lgkmcnt(0)
	v_cmp_gt_u64_e32 vcc, s[4:5], v[28:29]
	s_and_saveexec_b64 s[2:3], vcc
	s_cbranch_execz .LBB0_2
; %bb.1:
	s_load_dwordx4 s[8:11], s[0:1], 0x0
	s_load_dwordx4 s[12:15], s[0:1], 0x18
	v_mov_b32_e32 v4, s6
	v_mov_b32_e32 v5, s7
	s_mov_b32 s2, 0xcccccccd
	v_mul_hi_u32 v1, v28, s2
	s_waitcnt lgkmcnt(0)
	s_load_dwordx4 s[4:7], s[14:15], 0x0
	v_lshrrev_b32_e32 v1, 2, v1
	s_load_dwordx4 s[12:15], s[12:13], 0x0
	v_lshl_add_u32 v1, v1, 2, v1
	v_sub_u32_e32 v52, v28, v1
	s_waitcnt lgkmcnt(0)
	v_mad_u64_u32 v[76:77], s[2:3], s6, v28, 0
	v_mov_b32_e32 v6, v77
	v_mul_lo_u16_e32 v1, 49, v2
	v_mad_u64_u32 v[78:79], s[2:3], s7, v28, v[6:7]
	v_mad_u64_u32 v[6:7], s[2:3], s14, v28, 0
	v_sub_u16_e32 v84, v0, v1
	v_mov_b32_e32 v8, v7
	v_mad_u64_u32 v[0:1], s[2:3], s12, v84, 0
	v_mad_u64_u32 v[8:9], s[2:3], s15, v28, v[8:9]
	v_mov_b32_e32 v2, v1
	v_mov_b32_e32 v7, v8
	v_mad_u64_u32 v[2:3], s[2:3], s13, v84, v[2:3]
	v_mov_b32_e32 v1, v2
	v_lshl_add_u64 v[2:3], v[6:7], 4, v[4:5]
	v_lshl_add_u64 v[0:1], v[0:1], 4, v[2:3]
	v_mov_b32_e32 v79, 0x310
	v_mad_u64_u32 v[4:5], s[2:3], s12, v79, v[0:1]
	s_mul_i32 s6, s13, 0x310
	v_add_u32_e32 v5, s6, v5
	global_load_dwordx4 v[30:33], v[0:1], off
	v_lshlrev_b32_e32 v28, 4, v84
	v_mad_u64_u32 v[6:7], s[2:3], s12, v79, v[4:5]
	global_load_dwordx4 v[16:19], v28, s[8:9]
	global_load_dwordx4 v[0:3], v28, s[8:9] offset:784
	v_add_u32_e32 v7, s6, v7
	global_load_dwordx4 v[34:37], v[4:5], off
	global_load_dwordx4 v[38:41], v[6:7], off
	v_mad_u64_u32 v[4:5], s[2:3], s12, v79, v[6:7]
	v_add_u32_e32 v5, s6, v5
	v_mad_u64_u32 v[6:7], s[2:3], s12, v79, v[4:5]
	global_load_dwordx4 v[20:23], v28, s[8:9] offset:1568
	global_load_dwordx4 v[8:11], v28, s[8:9] offset:2352
	v_add_u32_e32 v7, s6, v7
	v_mad_u64_u32 v[12:13], s[2:3], s12, v79, v[6:7]
	global_load_dwordx4 v[42:45], v[4:5], off
	global_load_dwordx4 v[46:49], v[6:7], off
	v_add_u32_e32 v13, s6, v13
	v_mad_u64_u32 v[50:51], s[2:3], s12, v79, v[12:13]
	v_lshl_add_u64 v[80:81], s[8:9], 0, v[28:29]
	global_load_dwordx4 v[54:57], v[12:13], off
	global_load_dwordx4 v[24:27], v28, s[8:9] offset:3136
	global_load_dwordx4 v[4:7], v28, s[8:9] offset:3920
	s_movk_i32 s2, 0x1000
	v_add_co_u32_e32 v82, vcc, s2, v80
	v_add_u32_e32 v51, s6, v51
	s_nop 0
	v_addc_co_u32_e32 v83, vcc, 0, v81, vcc
	global_load_dwordx4 v[12:15], v[82:83], off offset:608
	global_load_dwordx4 v[58:61], v[50:51], off
	v_mul_u32_u24_e32 v29, 0x157, v52
	v_lshlrev_b32_e32 v52, 4, v29
	v_add_u32_e32 v85, v28, v52
	s_mov_b32 s6, 0x37e14327
	s_mov_b32 s2, 0x36b3c0b5
	;; [unrolled: 1-line block ×22, first 2 shown]
	v_mul_lo_u16_e32 v53, 7, v84
	v_lshl_add_u32 v77, v53, 4, v52
	s_movk_i32 s28, 0x60
	s_load_dwordx2 s[0:1], s[0:1], 0x38
	s_waitcnt vmcnt(12)
	v_mul_f64 v[28:29], v[32:33], v[18:19]
	v_mul_f64 v[50:51], v[30:31], v[18:19]
	v_fmac_f64_e32 v[28:29], v[30:31], v[16:17]
	v_fma_f64 v[30:31], v[32:33], v[16:17], -v[50:51]
	ds_write_b128 v85, v[28:31]
	s_waitcnt vmcnt(10)
	v_mul_f64 v[28:29], v[36:37], v[2:3]
	v_mul_f64 v[30:31], v[34:35], v[2:3]
	v_fmac_f64_e32 v[28:29], v[34:35], v[0:1]
	v_fma_f64 v[30:31], v[36:37], v[0:1], -v[30:31]
	ds_write_b128 v85, v[28:31] offset:784
	s_waitcnt vmcnt(8)
	v_mul_f64 v[28:29], v[40:41], v[22:23]
	v_mul_f64 v[30:31], v[38:39], v[22:23]
	v_fmac_f64_e32 v[28:29], v[38:39], v[20:21]
	v_fma_f64 v[30:31], v[40:41], v[20:21], -v[30:31]
	ds_write_b128 v85, v[28:31] offset:1568
	;; [unrolled: 6-line block ×6, first 2 shown]
	s_waitcnt lgkmcnt(0)
	s_barrier
	ds_read_b128 v[28:31], v85
	ds_read_b128 v[32:35], v85 offset:784
	ds_read_b128 v[36:39], v85 offset:4704
	;; [unrolled: 1-line block ×6, first 2 shown]
	s_waitcnt lgkmcnt(4)
	v_add_f64 v[58:59], v[32:33], v[36:37]
	v_add_f64 v[32:33], v[32:33], -v[36:37]
	v_add_f64 v[60:61], v[34:35], v[38:39]
	v_add_f64 v[34:35], v[34:35], -v[38:39]
	s_waitcnt lgkmcnt(0)
	v_add_f64 v[36:37], v[40:41], v[54:55]
	v_add_f64 v[38:39], v[42:43], v[56:57]
	v_add_f64 v[40:41], v[40:41], -v[54:55]
	v_add_f64 v[54:55], v[44:45], v[48:49]
	v_add_f64 v[44:45], v[48:49], -v[44:45]
	v_add_f64 v[48:49], v[36:37], v[58:59]
	v_add_f64 v[42:43], v[42:43], -v[56:57]
	v_add_f64 v[56:57], v[46:47], v[50:51]
	v_add_f64 v[46:47], v[50:51], -v[46:47]
	v_add_f64 v[50:51], v[38:39], v[60:61]
	v_add_f64 v[48:49], v[54:55], v[48:49]
	;; [unrolled: 1-line block ×4, first 2 shown]
	v_add_f64 v[62:63], v[36:37], -v[58:59]
	v_add_f64 v[64:65], v[38:39], -v[60:61]
	;; [unrolled: 1-line block ×6, first 2 shown]
	v_add_f64 v[66:67], v[44:45], v[40:41]
	v_add_f64 v[68:69], v[46:47], v[42:43]
	v_add_f64 v[70:71], v[44:45], -v[40:41]
	v_add_f64 v[72:73], v[46:47], -v[42:43]
	;; [unrolled: 1-line block ×4, first 2 shown]
	v_add_f64 v[30:31], v[30:31], v[50:51]
	v_mov_b64_e32 v[74:75], v[28:29]
	v_add_f64 v[44:45], v[32:33], -v[44:45]
	v_add_f64 v[46:47], v[34:35], -v[46:47]
	v_add_f64 v[32:33], v[66:67], v[32:33]
	v_add_f64 v[34:35], v[68:69], v[34:35]
	v_mul_f64 v[54:55], v[58:59], s[6:7]
	v_mul_f64 v[56:57], v[60:61], s[6:7]
	;; [unrolled: 1-line block ×8, first 2 shown]
	v_fmac_f64_e32 v[74:75], s[14:15], v[48:49]
	v_mov_b64_e32 v[48:49], v[30:31]
	v_fmac_f64_e32 v[48:49], s[14:15], v[50:51]
	v_fma_f64 v[50:51], v[62:63], s[16:17], -v[58:59]
	v_fma_f64 v[58:59], v[64:65], s[16:17], -v[60:61]
	;; [unrolled: 1-line block ×3, first 2 shown]
	v_fmac_f64_e32 v[54:55], s[2:3], v[36:37]
	v_fma_f64 v[36:37], v[64:65], s[20:21], -v[56:57]
	v_fmac_f64_e32 v[56:57], s[2:3], v[38:39]
	v_fma_f64 v[62:63], v[40:41], s[26:27], -v[66:67]
	v_fmac_f64_e32 v[66:67], s[18:19], v[44:45]
	v_fma_f64 v[64:65], v[42:43], s[26:27], -v[68:69]
	v_fmac_f64_e32 v[68:69], s[18:19], v[46:47]
	v_fmac_f64_e32 v[70:71], s[24:25], v[44:45]
	;; [unrolled: 1-line block ×3, first 2 shown]
	v_add_f64 v[54:55], v[54:55], v[74:75]
	v_add_f64 v[56:57], v[56:57], v[48:49]
	;; [unrolled: 1-line block ×6, first 2 shown]
	v_fmac_f64_e32 v[66:67], s[22:23], v[32:33]
	v_fmac_f64_e32 v[68:69], s[22:23], v[34:35]
	;; [unrolled: 1-line block ×6, first 2 shown]
	v_add_f64 v[32:33], v[54:55], v[68:69]
	v_add_f64 v[34:35], v[56:57], -v[66:67]
	v_add_f64 v[36:37], v[50:51], v[72:73]
	v_add_f64 v[38:39], v[58:59], -v[70:71]
	v_add_f64 v[40:41], v[44:45], -v[64:65]
	v_add_f64 v[42:43], v[62:63], v[46:47]
	v_add_f64 v[44:45], v[44:45], v[64:65]
	v_add_f64 v[46:47], v[46:47], -v[62:63]
	v_add_f64 v[48:49], v[50:51], -v[72:73]
	v_add_f64 v[50:51], v[70:71], v[58:59]
	v_add_f64 v[54:55], v[54:55], -v[68:69]
	v_add_f64 v[56:57], v[66:67], v[56:57]
	s_barrier
	ds_write_b128 v77, v[28:31]
	ds_write_b128 v77, v[32:35] offset:16
	ds_write_b128 v77, v[36:39] offset:32
	;; [unrolled: 1-line block ×6, first 2 shown]
	v_mov_b32_e32 v28, 37
	v_mul_lo_u16_sdwa v28, v84, v28 dst_sel:DWORD dst_unused:UNUSED_PAD src0_sel:BYTE_0 src1_sel:DWORD
	v_sub_u16_sdwa v29, v84, v28 dst_sel:DWORD dst_unused:UNUSED_PAD src0_sel:DWORD src1_sel:BYTE_1
	v_lshrrev_b16_e32 v29, 1, v29
	v_and_b32_e32 v29, 0x7f, v29
	v_add_u16_sdwa v28, v29, v28 dst_sel:DWORD dst_unused:UNUSED_PAD src0_sel:DWORD src1_sel:BYTE_1
	v_lshrrev_b16_e32 v53, 2, v28
	v_mul_lo_u16_e32 v28, 7, v53
	v_sub_u16_e32 v120, v84, v28
	v_mov_b32_e32 v28, 6
	v_mul_u32_u24_sdwa v28, v120, v28 dst_sel:DWORD dst_unused:UNUSED_PAD src0_sel:BYTE_0 src1_sel:DWORD
	v_lshlrev_b32_e32 v54, 4, v28
	s_waitcnt lgkmcnt(0)
	s_barrier
	global_load_dwordx4 v[40:43], v54, s[10:11]
	global_load_dwordx4 v[36:39], v54, s[10:11] offset:16
	global_load_dwordx4 v[32:35], v54, s[10:11] offset:32
	;; [unrolled: 1-line block ×5, first 2 shown]
	ds_read_b128 v[54:57], v85 offset:784
	ds_read_b128 v[58:61], v85 offset:1568
	;; [unrolled: 1-line block ×5, first 2 shown]
	ds_read_b128 v[86:89], v85
	v_mul_u32_u24_e32 v53, 49, v53
	v_add_u32_sdwa v53, v53, v120 dst_sel:DWORD dst_unused:UNUSED_PAD src0_sel:DWORD src1_sel:BYTE_0
	s_waitcnt vmcnt(5) lgkmcnt(5)
	v_mul_f64 v[74:75], v[56:57], v[42:43]
	v_fma_f64 v[74:75], v[54:55], v[40:41], -v[74:75]
	v_mul_f64 v[90:91], v[54:55], v[42:43]
	s_waitcnt vmcnt(4) lgkmcnt(4)
	v_mul_f64 v[54:55], v[60:61], v[38:39]
	v_fma_f64 v[92:93], v[58:59], v[36:37], -v[54:55]
	v_mul_f64 v[58:59], v[58:59], v[38:39]
	s_waitcnt vmcnt(3) lgkmcnt(3)
	v_mul_f64 v[54:55], v[64:65], v[34:35]
	v_fmac_f64_e32 v[58:59], v[60:61], v[36:37]
	v_fma_f64 v[60:61], v[62:63], v[32:33], -v[54:55]
	v_mul_f64 v[62:63], v[62:63], v[34:35]
	s_waitcnt vmcnt(2) lgkmcnt(2)
	v_mul_f64 v[54:55], v[68:69], v[30:31]
	v_fmac_f64_e32 v[90:91], v[56:57], v[40:41]
	v_fmac_f64_e32 v[62:63], v[64:65], v[32:33]
	v_fma_f64 v[64:65], v[66:67], v[28:29], -v[54:55]
	ds_read_b128 v[54:57], v85 offset:4704
	v_mul_f64 v[66:67], v[66:67], v[30:31]
	v_fmac_f64_e32 v[66:67], v[68:69], v[28:29]
	s_waitcnt vmcnt(1) lgkmcnt(2)
	v_mul_f64 v[68:69], v[72:73], v[50:51]
	v_fma_f64 v[68:69], v[70:71], v[48:49], -v[68:69]
	v_mul_f64 v[70:71], v[70:71], v[50:51]
	v_fmac_f64_e32 v[70:71], v[72:73], v[48:49]
	s_waitcnt vmcnt(0) lgkmcnt(0)
	v_mul_f64 v[72:73], v[56:57], v[46:47]
	v_fma_f64 v[72:73], v[54:55], v[44:45], -v[72:73]
	v_mul_f64 v[94:95], v[54:55], v[46:47]
	v_fmac_f64_e32 v[94:95], v[56:57], v[44:45]
	v_add_f64 v[96:97], v[74:75], v[72:73]
	v_add_f64 v[98:99], v[92:93], v[68:69]
	;; [unrolled: 1-line block ×12, first 2 shown]
	v_add_f64 v[72:73], v[74:75], -v[72:73]
	v_add_f64 v[74:75], v[90:91], -v[94:95]
	;; [unrolled: 1-line block ×6, first 2 shown]
	v_mov_b64_e32 v[86:87], v[54:55]
	v_fmac_f64_e32 v[86:87], s[14:15], v[102:103]
	v_mov_b64_e32 v[88:89], v[56:57]
	v_add_f64 v[90:91], v[98:99], -v[96:97]
	v_add_f64 v[92:93], v[100:101], -v[98:99]
	;; [unrolled: 1-line block ×4, first 2 shown]
	v_add_f64 v[60:61], v[70:71], v[68:69]
	v_add_f64 v[62:63], v[70:71], -v[68:69]
	v_add_f64 v[68:69], v[68:69], -v[72:73]
	v_add_f64 v[64:65], v[66:67], v[58:59]
	v_add_f64 v[102:103], v[66:67], -v[58:59]
	v_add_f64 v[106:107], v[58:59], -v[74:75]
	;; [unrolled: 1-line block ×4, first 2 shown]
	v_fmac_f64_e32 v[88:89], s[14:15], v[110:111]
	v_add_f64 v[110:111], v[60:61], v[72:73]
	v_add_f64 v[112:113], v[64:65], v[74:75]
	v_mul_f64 v[114:115], v[62:63], s[12:13]
	v_mul_f64 v[102:103], v[102:103], s[12:13]
	;; [unrolled: 1-line block ×3, first 2 shown]
	v_add_f64 v[104:105], v[72:73], -v[70:71]
	v_add_f64 v[74:75], v[74:75], -v[66:67]
	v_mul_f64 v[96:97], v[96:97], s[6:7]
	v_mul_f64 v[100:101], v[100:101], s[6:7]
	;; [unrolled: 1-line block ×4, first 2 shown]
	v_fma_f64 v[58:59], v[90:91], s[16:17], -v[58:59]
	v_mul_f64 v[60:61], v[98:99], s[2:3]
	v_fma_f64 v[116:117], v[68:69], s[26:27], -v[114:115]
	v_fma_f64 v[118:119], v[106:107], s[26:27], -v[102:103]
	;; [unrolled: 1-line block ×4, first 2 shown]
	v_fmac_f64_e32 v[72:73], s[24:25], v[104:105]
	v_fmac_f64_e32 v[70:71], s[24:25], v[74:75]
	;; [unrolled: 1-line block ×6, first 2 shown]
	v_fma_f64 v[60:61], v[94:95], s[16:17], -v[60:61]
	v_add_f64 v[62:63], v[58:59], v[86:87]
	v_add_f64 v[90:91], v[66:67], v[86:87]
	;; [unrolled: 1-line block ×3, first 2 shown]
	v_fmac_f64_e32 v[72:73], s[22:23], v[110:111]
	v_fmac_f64_e32 v[70:71], s[22:23], v[112:113]
	v_add_f64 v[74:75], v[96:97], v[86:87]
	v_add_f64 v[86:87], v[100:101], v[88:89]
	v_fmac_f64_e32 v[114:115], s[22:23], v[110:111]
	v_fmac_f64_e32 v[102:103], s[22:23], v[112:113]
	v_add_f64 v[64:65], v[60:61], v[88:89]
	v_fmac_f64_e32 v[116:117], s[22:23], v[110:111]
	v_fmac_f64_e32 v[118:119], s[22:23], v[112:113]
	v_add_f64 v[66:67], v[70:71], v[90:91]
	v_add_f64 v[68:69], v[94:95], -v[72:73]
	v_add_f64 v[70:71], v[90:91], -v[70:71]
	v_add_f64 v[72:73], v[72:73], v[94:95]
	v_add_f64 v[88:89], v[102:103], v[74:75]
	v_add_f64 v[90:91], v[86:87], -v[114:115]
	v_add_f64 v[94:95], v[114:115], v[86:87]
	v_lshl_add_u32 v86, v53, 4, v52
	v_mov_b64_e32 v[52:53], s[10:11]
	v_add_f64 v[58:59], v[62:63], -v[118:119]
	v_add_f64 v[60:61], v[116:117], v[64:65]
	v_add_f64 v[62:63], v[118:119], v[62:63]
	v_add_f64 v[64:65], v[64:65], -v[116:117]
	v_add_f64 v[92:93], v[74:75], -v[102:103]
	s_barrier
	ds_write_b128 v86, v[54:57]
	ds_write_b128 v86, v[88:91] offset:112
	ds_write_b128 v86, v[66:69] offset:224
	;; [unrolled: 1-line block ×6, first 2 shown]
	v_mad_u64_u32 v[88:89], s[10:11], v84, s28, v[52:53]
	s_waitcnt lgkmcnt(0)
	s_barrier
	global_load_dwordx4 v[56:59], v[88:89], off offset:672
	global_load_dwordx4 v[52:55], v[88:89], off offset:688
	;; [unrolled: 1-line block ×6, first 2 shown]
	ds_read_b128 v[88:91], v85 offset:784
	ds_read_b128 v[92:95], v85 offset:1568
	;; [unrolled: 1-line block ×3, first 2 shown]
	ds_read_b128 v[100:103], v85
	s_mov_b64 s[10:11], 0x1570
	s_waitcnt vmcnt(5) lgkmcnt(3)
	v_mul_f64 v[104:105], v[90:91], v[58:59]
	v_fma_f64 v[104:105], v[88:89], v[56:57], -v[104:105]
	v_mul_f64 v[106:107], v[88:89], v[58:59]
	s_waitcnt vmcnt(4) lgkmcnt(2)
	v_mul_f64 v[88:89], v[94:95], v[54:55]
	v_fmac_f64_e32 v[106:107], v[90:91], v[56:57]
	v_fma_f64 v[108:109], v[92:93], v[52:53], -v[88:89]
	ds_read_b128 v[88:91], v85 offset:3136
	v_mul_f64 v[110:111], v[92:93], v[54:55]
	s_waitcnt vmcnt(3) lgkmcnt(2)
	v_mul_f64 v[92:93], v[98:99], v[62:63]
	v_fmac_f64_e32 v[110:111], v[94:95], v[52:53]
	v_fma_f64 v[112:113], v[96:97], v[60:61], -v[92:93]
	ds_read_b128 v[92:95], v85 offset:3920
	v_mul_f64 v[96:97], v[96:97], v[62:63]
	v_fmac_f64_e32 v[96:97], v[98:99], v[60:61]
	s_waitcnt vmcnt(2) lgkmcnt(1)
	v_mul_f64 v[98:99], v[90:91], v[66:67]
	v_mul_f64 v[114:115], v[88:89], v[66:67]
	v_fma_f64 v[98:99], v[88:89], v[64:65], -v[98:99]
	v_fmac_f64_e32 v[114:115], v[90:91], v[64:65]
	ds_read_b128 v[88:91], v85 offset:4704
	s_waitcnt vmcnt(1) lgkmcnt(1)
	v_mul_f64 v[116:117], v[94:95], v[70:71]
	v_fma_f64 v[116:117], v[92:93], v[68:69], -v[116:117]
	v_mul_f64 v[92:93], v[92:93], v[70:71]
	v_fmac_f64_e32 v[92:93], v[94:95], v[68:69]
	s_waitcnt vmcnt(0) lgkmcnt(0)
	v_mul_f64 v[94:95], v[90:91], v[74:75]
	v_fma_f64 v[94:95], v[88:89], v[72:73], -v[94:95]
	v_mul_f64 v[118:119], v[88:89], v[74:75]
	v_fmac_f64_e32 v[118:119], v[90:91], v[72:73]
	v_add_f64 v[120:121], v[104:105], v[94:95]
	v_add_f64 v[122:123], v[108:109], v[116:117]
	;; [unrolled: 1-line block ×12, first 2 shown]
	v_add_f64 v[102:103], v[106:107], -v[118:119]
	v_add_f64 v[92:93], v[110:111], -v[92:93]
	;; [unrolled: 1-line block ×6, first 2 shown]
	v_mov_b64_e32 v[108:109], v[88:89]
	v_add_f64 v[112:113], v[122:123], -v[120:121]
	v_add_f64 v[116:117], v[130:131], -v[128:129]
	;; [unrolled: 1-line block ×5, first 2 shown]
	v_fmac_f64_e32 v[108:109], s[14:15], v[126:127]
	v_mov_b64_e32 v[110:111], v[90:91]
	v_add_f64 v[114:115], v[124:125], -v[122:123]
	v_add_f64 v[96:97], v[104:105], v[94:95]
	v_add_f64 v[98:99], v[104:105], -v[94:95]
	v_add_f64 v[122:123], v[94:95], -v[100:101]
	v_add_f64 v[94:95], v[106:107], v[92:93]
	v_add_f64 v[126:127], v[106:107], -v[92:93]
	v_add_f64 v[124:125], v[128:129], -v[132:133]
	v_add_f64 v[128:129], v[100:101], -v[104:105]
	v_add_f64 v[132:133], v[102:103], -v[106:107]
	v_mul_f64 v[120:121], v[120:121], s[6:7]
	v_mul_f64 v[104:105], v[130:131], s[8:9]
	v_fmac_f64_e32 v[110:111], s[14:15], v[134:135]
	v_add_f64 v[134:135], v[96:97], v[100:101]
	v_add_f64 v[136:137], v[94:95], v[102:103]
	v_mul_f64 v[138:139], v[98:99], s[12:13]
	v_mul_f64 v[126:127], v[126:127], s[12:13]
	;; [unrolled: 1-line block ×6, first 2 shown]
	v_fma_f64 v[100:101], v[112:113], s[20:21], -v[120:121]
	v_fmac_f64_e32 v[104:105], s[24:25], v[132:133]
	v_fma_f64 v[92:93], v[112:113], s[16:17], -v[92:93]
	v_fma_f64 v[94:95], v[116:117], s[16:17], -v[94:95]
	;; [unrolled: 1-line block ×5, first 2 shown]
	v_fmac_f64_e32 v[106:107], s[24:25], v[128:129]
	v_add_f64 v[112:113], v[100:101], v[108:109]
	v_fmac_f64_e32 v[104:105], s[22:23], v[136:137]
	v_fmac_f64_e32 v[120:121], s[2:3], v[114:115]
	;; [unrolled: 1-line block ×5, first 2 shown]
	v_add_f64 v[96:97], v[92:93], v[108:109]
	v_add_f64 v[98:99], v[94:95], v[110:111]
	v_fmac_f64_e32 v[140:141], s[22:23], v[134:135]
	v_fmac_f64_e32 v[142:143], s[22:23], v[136:137]
	v_add_f64 v[116:117], v[102:103], v[110:111]
	v_fmac_f64_e32 v[106:107], s[22:23], v[134:135]
	v_add_f64 v[100:101], v[104:105], v[112:113]
	v_add_f64 v[104:105], v[112:113], -v[104:105]
	v_add_f64 v[112:113], v[120:121], v[108:109]
	v_add_f64 v[114:115], v[124:125], v[110:111]
	v_fmac_f64_e32 v[138:139], s[22:23], v[134:135]
	v_fmac_f64_e32 v[126:127], s[22:23], v[136:137]
	v_add_f64 v[92:93], v[96:97], -v[142:143]
	v_add_f64 v[94:95], v[140:141], v[98:99]
	v_add_f64 v[96:97], v[142:143], v[96:97]
	v_add_f64 v[98:99], v[98:99], -v[140:141]
	v_add_f64 v[102:103], v[116:117], -v[106:107]
	v_add_f64 v[106:107], v[106:107], v[116:117]
	v_add_f64 v[108:109], v[126:127], v[112:113]
	v_add_f64 v[110:111], v[114:115], -v[138:139]
	v_add_f64 v[112:113], v[112:113], -v[126:127]
	v_add_f64 v[114:115], v[138:139], v[114:115]
	ds_write_b128 v85, v[88:91]
	ds_write_b128 v85, v[108:111] offset:784
	ds_write_b128 v85, v[100:103] offset:1568
	;; [unrolled: 1-line block ×6, first 2 shown]
	s_waitcnt lgkmcnt(0)
	s_barrier
	global_load_dwordx4 v[88:91], v[82:83], off offset:1392
	v_lshl_add_u64 v[82:83], v[80:81], 0, s[10:11]
	global_load_dwordx4 v[92:95], v[82:83], off offset:784
	global_load_dwordx4 v[96:99], v[82:83], off offset:1568
	global_load_dwordx4 v[100:103], v[82:83], off offset:2352
	global_load_dwordx4 v[104:107], v[82:83], off offset:3136
	global_load_dwordx4 v[108:111], v[82:83], off offset:3920
	s_movk_i32 s10, 0x2000
	v_add_co_u32_e32 v80, vcc, s10, v80
	s_mov_b32 s13, 0x3fe11646
	s_nop 0
	v_addc_co_u32_e32 v81, vcc, 0, v81, vcc
	global_load_dwordx4 v[80:83], v[80:81], off offset:2000
	ds_read_b128 v[112:115], v85
	ds_read_b128 v[116:119], v85 offset:784
	s_mov_b32 s23, 0xbfdc38aa
	s_waitcnt vmcnt(6) lgkmcnt(1)
	v_mul_f64 v[120:121], v[114:115], v[90:91]
	v_mul_f64 v[122:123], v[112:113], v[90:91]
	v_fma_f64 v[120:121], v[112:113], v[88:89], -v[120:121]
	v_fmac_f64_e32 v[122:123], v[114:115], v[88:89]
	ds_read_b128 v[88:91], v85 offset:1568
	s_waitcnt vmcnt(5) lgkmcnt(1)
	v_mul_f64 v[112:113], v[118:119], v[94:95]
	v_mul_f64 v[114:115], v[116:117], v[94:95]
	v_fma_f64 v[112:113], v[116:117], v[92:93], -v[112:113]
	v_fmac_f64_e32 v[114:115], v[118:119], v[92:93]
	ds_read_b128 v[92:95], v85 offset:2352
	;; [unrolled: 6-line block ×5, first 2 shown]
	s_waitcnt vmcnt(1) lgkmcnt(1)
	v_mul_f64 v[104:105], v[94:95], v[110:111]
	v_mul_f64 v[106:107], v[92:93], v[110:111]
	v_fma_f64 v[104:105], v[92:93], v[108:109], -v[104:105]
	v_fmac_f64_e32 v[106:107], v[94:95], v[108:109]
	s_waitcnt vmcnt(0) lgkmcnt(0)
	v_mul_f64 v[92:93], v[90:91], v[82:83]
	v_mul_f64 v[94:95], v[88:89], v[82:83]
	v_fma_f64 v[92:93], v[88:89], v[80:81], -v[92:93]
	v_fmac_f64_e32 v[94:95], v[90:91], v[80:81]
	ds_write_b128 v85, v[120:123]
	ds_write_b128 v85, v[112:115] offset:784
	ds_write_b128 v85, v[116:119] offset:1568
	;; [unrolled: 1-line block ×6, first 2 shown]
	s_waitcnt lgkmcnt(0)
	s_barrier
	ds_read_b128 v[80:83], v85 offset:4704
	ds_read_b128 v[88:91], v85 offset:784
	ds_read_b128 v[92:95], v85
	ds_read_b128 v[96:99], v85 offset:3920
	ds_read_b128 v[100:103], v85 offset:1568
	s_waitcnt lgkmcnt(3)
	v_add_f64 v[104:105], v[88:89], v[80:81]
	v_add_f64 v[106:107], v[90:91], v[82:83]
	v_add_f64 v[108:109], v[88:89], -v[80:81]
	v_add_f64 v[110:111], v[90:91], -v[82:83]
	ds_read_b128 v[80:83], v85 offset:2352
	ds_read_b128 v[88:91], v85 offset:3136
	s_waitcnt lgkmcnt(2)
	v_add_f64 v[112:113], v[100:101], v[96:97]
	v_add_f64 v[114:115], v[102:103], v[98:99]
	v_add_f64 v[96:97], v[100:101], -v[96:97]
	v_add_f64 v[98:99], v[102:103], -v[98:99]
	s_waitcnt lgkmcnt(0)
	v_add_f64 v[100:101], v[80:81], v[88:89]
	v_add_f64 v[116:117], v[88:89], -v[80:81]
	v_add_f64 v[80:81], v[112:113], v[104:105]
	v_add_f64 v[102:103], v[82:83], v[90:91]
	;; [unrolled: 1-line block ×4, first 2 shown]
	v_add_f64 v[118:119], v[90:91], -v[82:83]
	v_add_f64 v[90:91], v[102:103], v[80:81]
	v_add_f64 v[80:81], v[92:93], v[88:89]
	;; [unrolled: 1-line block ×3, first 2 shown]
	v_mov_b64_e32 v[120:121], v[80:81]
	v_mov_b64_e32 v[122:123], v[82:83]
	v_fmac_f64_e32 v[120:121], s[14:15], v[88:89]
	v_fmac_f64_e32 v[122:123], s[14:15], v[90:91]
	v_add_f64 v[124:125], v[112:113], -v[104:105]
	v_add_f64 v[112:113], v[100:101], -v[112:113]
	;; [unrolled: 1-line block ×4, first 2 shown]
	v_add_f64 v[88:89], v[116:117], v[96:97]
	v_add_f64 v[90:91], v[116:117], -v[96:97]
	v_add_f64 v[94:95], v[118:119], -v[98:99]
	;; [unrolled: 1-line block ×3, first 2 shown]
	v_add_f64 v[92:93], v[118:119], v[98:99]
	v_add_f64 v[98:99], v[98:99], -v[110:111]
	v_add_f64 v[128:129], v[88:89], v[108:109]
	v_mul_f64 v[132:133], v[90:91], s[12:13]
	v_mul_f64 v[134:135], v[94:95], s[12:13]
	;; [unrolled: 1-line block ×4, first 2 shown]
	v_add_f64 v[100:101], v[104:105], -v[100:101]
	v_add_f64 v[102:103], v[106:107], -v[102:103]
	v_add_f64 v[130:131], v[92:93], v[110:111]
	v_fma_f64 v[88:89], v[124:125], s[16:17], -v[88:89]
	v_fma_f64 v[90:91], v[126:127], s[16:17], -v[90:91]
	;; [unrolled: 1-line block ×4, first 2 shown]
	v_add_f64 v[104:105], v[108:109], -v[116:117]
	v_add_f64 v[106:107], v[110:111], -v[118:119]
	v_mul_f64 v[108:109], v[100:101], s[6:7]
	v_mul_f64 v[110:111], v[102:103], s[6:7]
	;; [unrolled: 1-line block ×4, first 2 shown]
	v_add_f64 v[92:93], v[88:89], v[120:121]
	v_add_f64 v[94:95], v[90:91], v[122:123]
	v_fmac_f64_e32 v[136:137], s[22:23], v[128:129]
	v_fmac_f64_e32 v[138:139], s[22:23], v[130:131]
	v_fma_f64 v[96:97], v[124:125], s[20:21], -v[108:109]
	v_fma_f64 v[98:99], v[126:127], s[20:21], -v[110:111]
	v_fmac_f64_e32 v[102:103], s[18:19], v[104:105]
	v_fmac_f64_e32 v[100:101], s[18:19], v[106:107]
	;; [unrolled: 1-line block ×6, first 2 shown]
	v_add_f64 v[88:89], v[92:93], -v[138:139]
	v_add_f64 v[90:91], v[136:137], v[94:95]
	v_add_f64 v[116:117], v[96:97], v[120:121]
	;; [unrolled: 1-line block ×3, first 2 shown]
	v_fmac_f64_e32 v[102:103], s[22:23], v[128:129]
	v_fmac_f64_e32 v[100:101], s[22:23], v[130:131]
	v_add_f64 v[108:109], v[108:109], v[120:121]
	v_add_f64 v[110:111], v[110:111], v[122:123]
	v_fmac_f64_e32 v[132:133], s[22:23], v[128:129]
	v_fmac_f64_e32 v[134:135], s[22:23], v[130:131]
	v_add_f64 v[92:93], v[92:93], v[138:139]
	v_add_f64 v[94:95], v[94:95], -v[136:137]
	v_add_f64 v[96:97], v[116:117], v[100:101]
	v_add_f64 v[98:99], v[118:119], -v[102:103]
	v_add_f64 v[100:101], v[116:117], -v[100:101]
	v_add_f64 v[102:103], v[102:103], v[118:119]
	v_add_f64 v[104:105], v[108:109], v[134:135]
	v_add_f64 v[106:107], v[110:111], -v[132:133]
	v_add_f64 v[108:109], v[108:109], -v[134:135]
	v_add_f64 v[110:111], v[132:133], v[110:111]
	s_barrier
	ds_write_b128 v77, v[80:83]
	ds_write_b128 v77, v[104:107] offset:16
	ds_write_b128 v77, v[96:99] offset:32
	;; [unrolled: 1-line block ×6, first 2 shown]
	s_waitcnt lgkmcnt(0)
	s_barrier
	ds_read_b128 v[80:83], v85 offset:784
	ds_read_b128 v[88:91], v85
	ds_read_b128 v[92:95], v85 offset:1568
	v_mov_b32_e32 v77, v78
	s_waitcnt lgkmcnt(2)
	v_mul_f64 v[96:97], v[42:43], v[82:83]
	v_mul_f64 v[42:43], v[42:43], v[80:81]
	v_fmac_f64_e32 v[96:97], v[40:41], v[80:81]
	v_fma_f64 v[80:81], v[40:41], v[82:83], -v[42:43]
	ds_read_b128 v[40:43], v85 offset:2352
	s_waitcnt lgkmcnt(1)
	v_mul_f64 v[82:83], v[38:39], v[94:95]
	v_mul_f64 v[38:39], v[38:39], v[92:93]
	v_fmac_f64_e32 v[82:83], v[36:37], v[92:93]
	v_fma_f64 v[92:93], v[36:37], v[94:95], -v[38:39]
	ds_read_b128 v[36:39], v85 offset:3136
	;; [unrolled: 6-line block ×4, first 2 shown]
	s_waitcnt lgkmcnt(1)
	v_mul_f64 v[38:39], v[50:51], v[34:35]
	v_fmac_f64_e32 v[38:39], v[48:49], v[32:33]
	v_mul_f64 v[32:33], v[50:51], v[32:33]
	v_fma_f64 v[32:33], v[48:49], v[34:35], -v[32:33]
	s_waitcnt lgkmcnt(0)
	v_mul_f64 v[34:35], v[46:47], v[30:31]
	v_fmac_f64_e32 v[34:35], v[44:45], v[28:29]
	v_mul_f64 v[28:29], v[46:47], v[28:29]
	v_fma_f64 v[44:45], v[44:45], v[30:31], -v[28:29]
	v_add_f64 v[46:47], v[96:97], v[34:35]
	v_add_f64 v[48:49], v[82:83], v[38:39]
	;; [unrolled: 1-line block ×9, first 2 shown]
	v_add_f64 v[38:39], v[82:83], -v[38:39]
	v_add_f64 v[42:43], v[42:43], -v[94:95]
	v_add_f64 v[106:107], v[104:105], v[28:29]
	v_add_f64 v[28:29], v[88:89], v[98:99]
	v_add_f64 v[34:35], v[96:97], -v[34:35]
	v_add_f64 v[32:33], v[92:93], -v[32:33]
	;; [unrolled: 1-line block ×6, first 2 shown]
	v_add_f64 v[88:89], v[42:43], v[38:39]
	v_add_f64 v[30:31], v[90:91], v[106:107]
	v_add_f64 v[44:45], v[80:81], -v[44:45]
	v_add_f64 v[80:81], v[100:101], -v[104:105]
	;; [unrolled: 1-line block ×6, first 2 shown]
	v_add_f64 v[34:35], v[88:89], v[34:35]
	v_add_f64 v[88:89], v[36:37], v[32:33]
	v_mul_f64 v[46:47], v[46:47], s[6:7]
	v_mul_f64 v[96:97], v[48:49], s[2:3]
	v_add_f64 v[50:51], v[102:103], -v[100:101]
	v_add_f64 v[92:93], v[36:37], -v[32:33]
	v_add_f64 v[36:37], v[44:45], -v[36:37]
	v_add_f64 v[32:33], v[32:33], -v[44:45]
	v_add_f64 v[44:45], v[88:89], v[44:45]
	v_mov_b64_e32 v[88:89], v[28:29]
	v_fma_f64 v[96:97], v[40:41], s[16:17], -v[96:97]
	v_fma_f64 v[40:41], v[40:41], s[20:21], -v[46:47]
	v_fmac_f64_e32 v[46:47], s[2:3], v[48:49]
	v_mul_f64 v[48:49], v[80:81], s[6:7]
	v_mul_f64 v[80:81], v[82:83], s[2:3]
	v_fmac_f64_e32 v[88:89], s[14:15], v[98:99]
	v_mov_b64_e32 v[94:95], v[30:31]
	v_fma_f64 v[80:81], v[50:51], s[16:17], -v[80:81]
	v_fma_f64 v[50:51], v[50:51], s[20:21], -v[48:49]
	v_fmac_f64_e32 v[48:49], s[2:3], v[82:83]
	v_mul_f64 v[82:83], v[90:91], s[12:13]
	v_mul_f64 v[90:91], v[38:39], s[26:27]
	;; [unrolled: 1-line block ×4, first 2 shown]
	v_fmac_f64_e32 v[94:95], s[14:15], v[106:107]
	v_fma_f64 v[38:39], v[38:39], s[8:9], -v[82:83]
	v_fmac_f64_e32 v[82:83], s[24:25], v[42:43]
	v_fmac_f64_e32 v[90:91], s[18:19], v[42:43]
	v_fma_f64 v[42:43], v[32:33], s[8:9], -v[92:93]
	v_fmac_f64_e32 v[92:93], s[24:25], v[36:37]
	v_fmac_f64_e32 v[98:99], s[18:19], v[36:37]
	v_add_f64 v[100:101], v[46:47], v[88:89]
	v_add_f64 v[36:37], v[96:97], v[88:89]
	;; [unrolled: 1-line block ×6, first 2 shown]
	v_fmac_f64_e32 v[82:83], s[22:23], v[34:35]
	v_fmac_f64_e32 v[92:93], s[22:23], v[44:45]
	v_fmac_f64_e32 v[38:39], s[22:23], v[34:35]
	v_fmac_f64_e32 v[42:43], s[22:23], v[44:45]
	v_fmac_f64_e32 v[90:91], s[22:23], v[34:35]
	v_fmac_f64_e32 v[98:99], s[22:23], v[44:45]
	v_add_f64 v[32:33], v[36:37], -v[42:43]
	v_add_f64 v[34:35], v[38:39], v[40:41]
	v_add_f64 v[36:37], v[42:43], v[36:37]
	v_add_f64 v[38:39], v[40:41], -v[38:39]
	v_add_f64 v[40:41], v[98:99], v[46:47]
	v_add_f64 v[42:43], v[48:49], -v[90:91]
	v_add_f64 v[44:45], v[46:47], -v[98:99]
	v_add_f64 v[46:47], v[90:91], v[48:49]
	v_add_f64 v[48:49], v[92:93], v[100:101]
	v_add_f64 v[50:51], v[88:89], -v[82:83]
	v_add_f64 v[80:81], v[100:101], -v[92:93]
	v_add_f64 v[82:83], v[82:83], v[88:89]
	s_barrier
	ds_write_b128 v86, v[28:31]
	ds_write_b128 v86, v[48:51] offset:112
	ds_write_b128 v86, v[40:43] offset:224
	;; [unrolled: 1-line block ×6, first 2 shown]
	s_waitcnt lgkmcnt(0)
	s_barrier
	ds_read_b128 v[28:31], v85
	ds_read_b128 v[32:35], v85 offset:784
	ds_read_b128 v[36:39], v85 offset:1568
	;; [unrolled: 1-line block ×6, first 2 shown]
	s_waitcnt lgkmcnt(5)
	v_mul_f64 v[86:87], v[58:59], v[34:35]
	v_fmac_f64_e32 v[86:87], v[56:57], v[32:33]
	v_mul_f64 v[32:33], v[58:59], v[32:33]
	v_fma_f64 v[32:33], v[56:57], v[34:35], -v[32:33]
	s_waitcnt lgkmcnt(4)
	v_mul_f64 v[34:35], v[54:55], v[38:39]
	v_fmac_f64_e32 v[34:35], v[52:53], v[36:37]
	v_mul_f64 v[36:37], v[54:55], v[36:37]
	v_fma_f64 v[36:37], v[52:53], v[38:39], -v[36:37]
	;; [unrolled: 5-line block ×5, first 2 shown]
	s_waitcnt lgkmcnt(0)
	v_mul_f64 v[50:51], v[74:75], v[82:83]
	v_mul_f64 v[52:53], v[74:75], v[80:81]
	v_fmac_f64_e32 v[50:51], v[72:73], v[80:81]
	v_fma_f64 v[52:53], v[72:73], v[82:83], -v[52:53]
	v_add_f64 v[54:55], v[86:87], v[50:51]
	v_add_f64 v[56:57], v[32:33], v[52:53]
	v_add_f64 v[32:33], v[32:33], -v[52:53]
	v_add_f64 v[52:53], v[34:35], v[46:47]
	v_add_f64 v[58:59], v[36:37], v[48:49]
	v_add_f64 v[34:35], v[34:35], -v[46:47]
	v_add_f64 v[46:47], v[38:39], v[42:43]
	v_add_f64 v[38:39], v[42:43], -v[38:39]
	;; [unrolled: 2-line block ×4, first 2 shown]
	v_add_f64 v[44:45], v[58:59], v[56:57]
	v_add_f64 v[42:43], v[46:47], v[42:43]
	v_add_f64 v[50:51], v[86:87], -v[50:51]
	v_add_f64 v[44:45], v[48:49], v[44:45]
	v_add_f64 v[28:29], v[28:29], v[42:43]
	v_add_f64 v[60:61], v[52:53], -v[54:55]
	v_add_f64 v[62:63], v[58:59], -v[56:57]
	v_add_f64 v[54:55], v[54:55], -v[46:47]
	v_add_f64 v[56:57], v[56:57], -v[48:49]
	v_add_f64 v[52:53], v[46:47], -v[52:53]
	v_add_f64 v[58:59], v[48:49], -v[58:59]
	v_add_f64 v[64:65], v[38:39], v[34:35]
	v_add_f64 v[66:67], v[40:41], v[36:37]
	v_add_f64 v[68:69], v[38:39], -v[34:35]
	v_add_f64 v[70:71], v[40:41], -v[36:37]
	;; [unrolled: 1-line block ×4, first 2 shown]
	v_add_f64 v[30:31], v[30:31], v[44:45]
	v_mov_b64_e32 v[72:73], v[28:29]
	v_add_f64 v[38:39], v[50:51], -v[38:39]
	v_add_f64 v[40:41], v[32:33], -v[40:41]
	v_add_f64 v[46:47], v[64:65], v[50:51]
	v_add_f64 v[32:33], v[66:67], v[32:33]
	v_mul_f64 v[48:49], v[54:55], s[6:7]
	v_mul_f64 v[50:51], v[56:57], s[6:7]
	;; [unrolled: 1-line block ×8, first 2 shown]
	v_fmac_f64_e32 v[72:73], s[14:15], v[42:43]
	v_mov_b64_e32 v[42:43], v[30:31]
	v_fmac_f64_e32 v[42:43], s[14:15], v[44:45]
	v_fma_f64 v[44:45], s[2:3], v[52:53], v[48:49]
	v_fma_f64 v[52:53], v[60:61], s[16:17], -v[54:55]
	v_fma_f64 v[54:55], v[62:63], s[16:17], -v[56:57]
	;; [unrolled: 1-line block ×4, first 2 shown]
	v_fmac_f64_e32 v[50:51], s[2:3], v[58:59]
	v_fma_f64 v[58:59], s[24:25], v[38:39], v[64:65]
	v_fma_f64 v[60:61], v[34:35], s[8:9], -v[64:65]
	v_fma_f64 v[62:63], v[36:37], s[8:9], -v[66:67]
	v_fmac_f64_e32 v[66:67], s[24:25], v[40:41]
	v_fmac_f64_e32 v[68:69], s[18:19], v[38:39]
	;; [unrolled: 1-line block ×3, first 2 shown]
	v_add_f64 v[64:65], v[44:45], v[72:73]
	v_add_f64 v[74:75], v[50:51], v[42:43]
	;; [unrolled: 1-line block ×6, first 2 shown]
	v_fmac_f64_e32 v[58:59], s[22:23], v[46:47]
	v_fmac_f64_e32 v[66:67], s[22:23], v[32:33]
	;; [unrolled: 1-line block ×6, first 2 shown]
	v_add_f64 v[32:33], v[66:67], v[64:65]
	v_add_f64 v[34:35], v[74:75], -v[58:59]
	v_add_f64 v[36:37], v[70:71], v[48:49]
	v_add_f64 v[38:39], v[52:53], -v[68:69]
	v_add_f64 v[40:41], v[44:45], -v[62:63]
	v_add_f64 v[42:43], v[60:61], v[50:51]
	v_add_f64 v[44:45], v[62:63], v[44:45]
	v_add_f64 v[46:47], v[50:51], -v[60:61]
	v_add_f64 v[48:49], v[48:49], -v[70:71]
	v_add_f64 v[50:51], v[68:69], v[52:53]
	v_add_f64 v[52:53], v[64:65], -v[66:67]
	v_add_f64 v[54:55], v[58:59], v[74:75]
	ds_write_b128 v85, v[28:31]
	ds_write_b128 v85, v[32:35] offset:784
	ds_write_b128 v85, v[36:39] offset:1568
	;; [unrolled: 1-line block ×6, first 2 shown]
	s_waitcnt lgkmcnt(0)
	s_barrier
	ds_read_b128 v[28:31], v85
	ds_read_b128 v[32:35], v85 offset:784
	v_mov_b32_e32 v40, s0
	v_mov_b32_e32 v41, s1
	s_mov_b32 s0, 0x515a4f1d
	s_waitcnt lgkmcnt(1)
	v_mul_f64 v[36:37], v[18:19], v[30:31]
	v_mul_f64 v[18:19], v[18:19], v[28:29]
	v_fmac_f64_e32 v[36:37], v[16:17], v[28:29]
	s_mov_b32 s1, 0x3f67e225
	v_fma_f64 v[16:17], v[16:17], v[30:31], -v[18:19]
	v_mul_f64 v[38:39], v[16:17], s[0:1]
	v_mad_u64_u32 v[16:17], s[2:3], s4, v84, 0
	v_mov_b32_e32 v18, v17
	v_mad_u64_u32 v[18:19], s[2:3], s5, v84, v[18:19]
	v_mov_b32_e32 v17, v18
	v_lshl_add_u64 v[18:19], v[76:77], 4, v[40:41]
	v_lshl_add_u64 v[28:29], v[16:17], 4, v[18:19]
	s_waitcnt lgkmcnt(0)
	v_mul_f64 v[16:17], v[2:3], v[34:35]
	v_mul_f64 v[2:3], v[2:3], v[32:33]
	v_fmac_f64_e32 v[16:17], v[0:1], v[32:33]
	v_fma_f64 v[0:1], v[0:1], v[34:35], -v[2:3]
	v_mul_f64 v[18:19], v[0:1], s[0:1]
	ds_read_b128 v[0:3], v85 offset:1568
	v_mad_u64_u32 v[32:33], s[2:3], s4, v79, v[28:29]
	s_mulk_i32 s5, 0x310
	v_mul_f64 v[36:37], v[36:37], s[0:1]
	v_mul_f64 v[16:17], v[16:17], s[0:1]
	v_add_u32_e32 v33, s5, v33
	global_store_dwordx4 v[28:29], v[36:39], off
	global_store_dwordx4 v[32:33], v[16:19], off
	ds_read_b128 v[16:19], v85 offset:2352
	s_waitcnt lgkmcnt(1)
	v_mul_f64 v[28:29], v[22:23], v[2:3]
	v_fmac_f64_e32 v[28:29], v[20:21], v[0:1]
	v_mul_f64 v[0:1], v[22:23], v[0:1]
	v_fma_f64 v[0:1], v[20:21], v[2:3], -v[0:1]
	v_mul_f64 v[30:31], v[0:1], s[0:1]
	v_mad_u64_u32 v[20:21], s[2:3], s4, v79, v[32:33]
	s_waitcnt lgkmcnt(0)
	v_mul_f64 v[0:1], v[10:11], v[18:19]
	v_mul_f64 v[2:3], v[10:11], v[16:17]
	;; [unrolled: 1-line block ×3, first 2 shown]
	v_add_u32_e32 v21, s5, v21
	v_fmac_f64_e32 v[0:1], v[8:9], v[16:17]
	v_fma_f64 v[2:3], v[8:9], v[18:19], -v[2:3]
	ds_read_b128 v[8:11], v85 offset:3136
	global_store_dwordx4 v[20:21], v[28:31], off
	v_mad_u64_u32 v[20:21], s[2:3], s4, v79, v[20:21]
	v_mul_f64 v[0:1], v[0:1], s[0:1]
	v_mul_f64 v[2:3], v[2:3], s[0:1]
	v_add_u32_e32 v21, s5, v21
	global_store_dwordx4 v[20:21], v[0:3], off
	ds_read_b128 v[0:3], v85 offset:3920
	s_waitcnt lgkmcnt(1)
	v_mul_f64 v[16:17], v[26:27], v[10:11]
	v_fmac_f64_e32 v[16:17], v[24:25], v[8:9]
	v_mul_f64 v[8:9], v[26:27], v[8:9]
	v_fma_f64 v[8:9], v[24:25], v[10:11], -v[8:9]
	v_mul_f64 v[18:19], v[8:9], s[0:1]
	s_waitcnt lgkmcnt(0)
	v_mul_f64 v[8:9], v[6:7], v[2:3]
	v_fmac_f64_e32 v[8:9], v[4:5], v[0:1]
	v_mul_f64 v[0:1], v[6:7], v[0:1]
	v_fma_f64 v[0:1], v[4:5], v[2:3], -v[0:1]
	v_mul_f64 v[10:11], v[0:1], s[0:1]
	ds_read_b128 v[0:3], v85 offset:4704
	v_mad_u64_u32 v[20:21], s[2:3], s4, v79, v[20:21]
	v_mul_f64 v[16:17], v[16:17], s[0:1]
	v_add_u32_e32 v21, s5, v21
	s_waitcnt lgkmcnt(0)
	v_mul_f64 v[4:5], v[14:15], v[2:3]
	global_store_dwordx4 v[20:21], v[16:19], off
	v_fmac_f64_e32 v[4:5], v[12:13], v[0:1]
	v_mul_f64 v[0:1], v[14:15], v[0:1]
	v_mad_u64_u32 v[16:17], s[2:3], s4, v79, v[20:21]
	v_add_u32_e32 v17, s5, v17
	v_fma_f64 v[0:1], v[12:13], v[2:3], -v[0:1]
	v_mul_f64 v[8:9], v[8:9], s[0:1]
	v_mul_f64 v[4:5], v[4:5], s[0:1]
	;; [unrolled: 1-line block ×3, first 2 shown]
	v_mad_u64_u32 v[0:1], s[0:1], s4, v79, v[16:17]
	v_add_u32_e32 v1, s5, v1
	global_store_dwordx4 v[16:17], v[8:11], off
	global_store_dwordx4 v[0:1], v[4:7], off
.LBB0_2:
	s_endpgm
	.section	.rodata,"a",@progbits
	.p2align	6, 0x0
	.amdhsa_kernel bluestein_single_back_len343_dim1_dp_op_CI_CI
		.amdhsa_group_segment_fixed_size 27440
		.amdhsa_private_segment_fixed_size 0
		.amdhsa_kernarg_size 104
		.amdhsa_user_sgpr_count 2
		.amdhsa_user_sgpr_dispatch_ptr 0
		.amdhsa_user_sgpr_queue_ptr 0
		.amdhsa_user_sgpr_kernarg_segment_ptr 1
		.amdhsa_user_sgpr_dispatch_id 0
		.amdhsa_user_sgpr_kernarg_preload_length 0
		.amdhsa_user_sgpr_kernarg_preload_offset 0
		.amdhsa_user_sgpr_private_segment_size 0
		.amdhsa_uses_dynamic_stack 0
		.amdhsa_enable_private_segment 0
		.amdhsa_system_sgpr_workgroup_id_x 1
		.amdhsa_system_sgpr_workgroup_id_y 0
		.amdhsa_system_sgpr_workgroup_id_z 0
		.amdhsa_system_sgpr_workgroup_info 0
		.amdhsa_system_vgpr_workitem_id 0
		.amdhsa_next_free_vgpr 144
		.amdhsa_next_free_sgpr 29
		.amdhsa_accum_offset 144
		.amdhsa_reserve_vcc 1
		.amdhsa_float_round_mode_32 0
		.amdhsa_float_round_mode_16_64 0
		.amdhsa_float_denorm_mode_32 3
		.amdhsa_float_denorm_mode_16_64 3
		.amdhsa_dx10_clamp 1
		.amdhsa_ieee_mode 1
		.amdhsa_fp16_overflow 0
		.amdhsa_tg_split 0
		.amdhsa_exception_fp_ieee_invalid_op 0
		.amdhsa_exception_fp_denorm_src 0
		.amdhsa_exception_fp_ieee_div_zero 0
		.amdhsa_exception_fp_ieee_overflow 0
		.amdhsa_exception_fp_ieee_underflow 0
		.amdhsa_exception_fp_ieee_inexact 0
		.amdhsa_exception_int_div_zero 0
	.end_amdhsa_kernel
	.text
.Lfunc_end0:
	.size	bluestein_single_back_len343_dim1_dp_op_CI_CI, .Lfunc_end0-bluestein_single_back_len343_dim1_dp_op_CI_CI
                                        ; -- End function
	.section	.AMDGPU.csdata,"",@progbits
; Kernel info:
; codeLenInByte = 7264
; NumSgprs: 35
; NumVgprs: 144
; NumAgprs: 0
; TotalNumVgprs: 144
; ScratchSize: 0
; MemoryBound: 0
; FloatMode: 240
; IeeeMode: 1
; LDSByteSize: 27440 bytes/workgroup (compile time only)
; SGPRBlocks: 4
; VGPRBlocks: 17
; NumSGPRsForWavesPerEU: 35
; NumVGPRsForWavesPerEU: 144
; AccumOffset: 144
; Occupancy: 3
; WaveLimiterHint : 1
; COMPUTE_PGM_RSRC2:SCRATCH_EN: 0
; COMPUTE_PGM_RSRC2:USER_SGPR: 2
; COMPUTE_PGM_RSRC2:TRAP_HANDLER: 0
; COMPUTE_PGM_RSRC2:TGID_X_EN: 1
; COMPUTE_PGM_RSRC2:TGID_Y_EN: 0
; COMPUTE_PGM_RSRC2:TGID_Z_EN: 0
; COMPUTE_PGM_RSRC2:TIDIG_COMP_CNT: 0
; COMPUTE_PGM_RSRC3_GFX90A:ACCUM_OFFSET: 35
; COMPUTE_PGM_RSRC3_GFX90A:TG_SPLIT: 0
	.text
	.p2alignl 6, 3212836864
	.fill 256, 4, 3212836864
	.type	__hip_cuid_f81c1095fbeae4d4,@object ; @__hip_cuid_f81c1095fbeae4d4
	.section	.bss,"aw",@nobits
	.globl	__hip_cuid_f81c1095fbeae4d4
__hip_cuid_f81c1095fbeae4d4:
	.byte	0                               ; 0x0
	.size	__hip_cuid_f81c1095fbeae4d4, 1

	.ident	"AMD clang version 19.0.0git (https://github.com/RadeonOpenCompute/llvm-project roc-6.4.0 25133 c7fe45cf4b819c5991fe208aaa96edf142730f1d)"
	.section	".note.GNU-stack","",@progbits
	.addrsig
	.addrsig_sym __hip_cuid_f81c1095fbeae4d4
	.amdgpu_metadata
---
amdhsa.kernels:
  - .agpr_count:     0
    .args:
      - .actual_access:  read_only
        .address_space:  global
        .offset:         0
        .size:           8
        .value_kind:     global_buffer
      - .actual_access:  read_only
        .address_space:  global
        .offset:         8
        .size:           8
        .value_kind:     global_buffer
      - .actual_access:  read_only
        .address_space:  global
        .offset:         16
        .size:           8
        .value_kind:     global_buffer
      - .actual_access:  read_only
        .address_space:  global
        .offset:         24
        .size:           8
        .value_kind:     global_buffer
      - .actual_access:  read_only
        .address_space:  global
        .offset:         32
        .size:           8
        .value_kind:     global_buffer
      - .offset:         40
        .size:           8
        .value_kind:     by_value
      - .address_space:  global
        .offset:         48
        .size:           8
        .value_kind:     global_buffer
      - .address_space:  global
        .offset:         56
        .size:           8
        .value_kind:     global_buffer
      - .address_space:  global
        .offset:         64
        .size:           8
        .value_kind:     global_buffer
      - .address_space:  global
        .offset:         72
        .size:           8
        .value_kind:     global_buffer
      - .offset:         80
        .size:           4
        .value_kind:     by_value
      - .address_space:  global
        .offset:         88
        .size:           8
        .value_kind:     global_buffer
      - .address_space:  global
        .offset:         96
        .size:           8
        .value_kind:     global_buffer
    .group_segment_fixed_size: 27440
    .kernarg_segment_align: 8
    .kernarg_segment_size: 104
    .language:       OpenCL C
    .language_version:
      - 2
      - 0
    .max_flat_workgroup_size: 245
    .name:           bluestein_single_back_len343_dim1_dp_op_CI_CI
    .private_segment_fixed_size: 0
    .sgpr_count:     35
    .sgpr_spill_count: 0
    .symbol:         bluestein_single_back_len343_dim1_dp_op_CI_CI.kd
    .uniform_work_group_size: 1
    .uses_dynamic_stack: false
    .vgpr_count:     144
    .vgpr_spill_count: 0
    .wavefront_size: 64
amdhsa.target:   amdgcn-amd-amdhsa--gfx950
amdhsa.version:
  - 1
  - 2
...

	.end_amdgpu_metadata
